;; amdgpu-corpus repo=ROCm/rocFFT kind=compiled arch=gfx906 opt=O3
	.text
	.amdgcn_target "amdgcn-amd-amdhsa--gfx906"
	.amdhsa_code_object_version 6
	.protected	fft_rtc_back_len968_factors_2_2_2_11_11_wgs_176_tpt_88_half_ip_CI_unitstride_sbrr_dirReg ; -- Begin function fft_rtc_back_len968_factors_2_2_2_11_11_wgs_176_tpt_88_half_ip_CI_unitstride_sbrr_dirReg
	.globl	fft_rtc_back_len968_factors_2_2_2_11_11_wgs_176_tpt_88_half_ip_CI_unitstride_sbrr_dirReg
	.p2align	8
	.type	fft_rtc_back_len968_factors_2_2_2_11_11_wgs_176_tpt_88_half_ip_CI_unitstride_sbrr_dirReg,@function
fft_rtc_back_len968_factors_2_2_2_11_11_wgs_176_tpt_88_half_ip_CI_unitstride_sbrr_dirReg: ; @fft_rtc_back_len968_factors_2_2_2_11_11_wgs_176_tpt_88_half_ip_CI_unitstride_sbrr_dirReg
; %bb.0:
	s_load_dwordx2 s[2:3], s[4:5], 0x50
	s_load_dwordx4 s[8:11], s[4:5], 0x0
	s_load_dwordx2 s[12:13], s[4:5], 0x18
	v_mul_u32_u24_e32 v1, 0x2e9, v0
	v_lshrrev_b32_e32 v9, 16, v1
	v_mov_b32_e32 v3, 0
	s_waitcnt lgkmcnt(0)
	v_cmp_lt_u64_e64 s[0:1], s[10:11], 2
	v_mov_b32_e32 v1, 0
	v_lshl_add_u32 v5, s6, 1, v9
	v_mov_b32_e32 v6, v3
	s_and_b64 vcc, exec, s[0:1]
	v_mov_b32_e32 v2, 0
	s_cbranch_vccnz .LBB0_8
; %bb.1:
	s_load_dwordx2 s[0:1], s[4:5], 0x10
	s_add_u32 s6, s12, 8
	s_addc_u32 s7, s13, 0
	v_mov_b32_e32 v1, 0
	v_mov_b32_e32 v2, 0
	s_waitcnt lgkmcnt(0)
	s_add_u32 s14, s0, 8
	s_addc_u32 s15, s1, 0
	s_mov_b64 s[16:17], 1
.LBB0_2:                                ; =>This Inner Loop Header: Depth=1
	s_load_dwordx2 s[18:19], s[14:15], 0x0
                                        ; implicit-def: $vgpr7_vgpr8
	s_waitcnt lgkmcnt(0)
	v_or_b32_e32 v4, s19, v6
	v_cmp_ne_u64_e32 vcc, 0, v[3:4]
	s_and_saveexec_b64 s[0:1], vcc
	s_xor_b64 s[20:21], exec, s[0:1]
	s_cbranch_execz .LBB0_4
; %bb.3:                                ;   in Loop: Header=BB0_2 Depth=1
	v_cvt_f32_u32_e32 v4, s18
	v_cvt_f32_u32_e32 v7, s19
	s_sub_u32 s0, 0, s18
	s_subb_u32 s1, 0, s19
	v_mac_f32_e32 v4, 0x4f800000, v7
	v_rcp_f32_e32 v4, v4
	v_mul_f32_e32 v4, 0x5f7ffffc, v4
	v_mul_f32_e32 v7, 0x2f800000, v4
	v_trunc_f32_e32 v7, v7
	v_mac_f32_e32 v4, 0xcf800000, v7
	v_cvt_u32_f32_e32 v7, v7
	v_cvt_u32_f32_e32 v4, v4
	v_mul_lo_u32 v8, s0, v7
	v_mul_hi_u32 v10, s0, v4
	v_mul_lo_u32 v12, s1, v4
	v_mul_lo_u32 v11, s0, v4
	v_add_u32_e32 v8, v10, v8
	v_add_u32_e32 v8, v8, v12
	v_mul_hi_u32 v10, v4, v11
	v_mul_lo_u32 v12, v4, v8
	v_mul_hi_u32 v14, v4, v8
	v_mul_hi_u32 v13, v7, v11
	v_mul_lo_u32 v11, v7, v11
	v_mul_hi_u32 v15, v7, v8
	v_add_co_u32_e32 v10, vcc, v10, v12
	v_addc_co_u32_e32 v12, vcc, 0, v14, vcc
	v_mul_lo_u32 v8, v7, v8
	v_add_co_u32_e32 v10, vcc, v10, v11
	v_addc_co_u32_e32 v10, vcc, v12, v13, vcc
	v_addc_co_u32_e32 v11, vcc, 0, v15, vcc
	v_add_co_u32_e32 v8, vcc, v10, v8
	v_addc_co_u32_e32 v10, vcc, 0, v11, vcc
	v_add_co_u32_e32 v4, vcc, v4, v8
	v_addc_co_u32_e32 v7, vcc, v7, v10, vcc
	v_mul_lo_u32 v8, s0, v7
	v_mul_hi_u32 v10, s0, v4
	v_mul_lo_u32 v11, s1, v4
	v_mul_lo_u32 v12, s0, v4
	v_add_u32_e32 v8, v10, v8
	v_add_u32_e32 v8, v8, v11
	v_mul_lo_u32 v13, v4, v8
	v_mul_hi_u32 v14, v4, v12
	v_mul_hi_u32 v15, v4, v8
	;; [unrolled: 1-line block ×3, first 2 shown]
	v_mul_lo_u32 v12, v7, v12
	v_mul_hi_u32 v10, v7, v8
	v_add_co_u32_e32 v13, vcc, v14, v13
	v_addc_co_u32_e32 v14, vcc, 0, v15, vcc
	v_mul_lo_u32 v8, v7, v8
	v_add_co_u32_e32 v12, vcc, v13, v12
	v_addc_co_u32_e32 v11, vcc, v14, v11, vcc
	v_addc_co_u32_e32 v10, vcc, 0, v10, vcc
	v_add_co_u32_e32 v8, vcc, v11, v8
	v_addc_co_u32_e32 v10, vcc, 0, v10, vcc
	v_add_co_u32_e32 v4, vcc, v4, v8
	v_addc_co_u32_e32 v10, vcc, v7, v10, vcc
	v_mad_u64_u32 v[7:8], s[0:1], v5, v10, 0
	v_mul_hi_u32 v11, v5, v4
	v_add_co_u32_e32 v12, vcc, v11, v7
	v_addc_co_u32_e32 v13, vcc, 0, v8, vcc
	v_mad_u64_u32 v[7:8], s[0:1], v6, v4, 0
	v_mad_u64_u32 v[10:11], s[0:1], v6, v10, 0
	v_add_co_u32_e32 v4, vcc, v12, v7
	v_addc_co_u32_e32 v4, vcc, v13, v8, vcc
	v_addc_co_u32_e32 v7, vcc, 0, v11, vcc
	v_add_co_u32_e32 v4, vcc, v4, v10
	v_addc_co_u32_e32 v10, vcc, 0, v7, vcc
	v_mul_lo_u32 v11, s19, v4
	v_mul_lo_u32 v12, s18, v10
	v_mad_u64_u32 v[7:8], s[0:1], s18, v4, 0
	v_add3_u32 v8, v8, v12, v11
	v_sub_u32_e32 v11, v6, v8
	v_mov_b32_e32 v12, s19
	v_sub_co_u32_e32 v7, vcc, v5, v7
	v_subb_co_u32_e64 v11, s[0:1], v11, v12, vcc
	v_subrev_co_u32_e64 v12, s[0:1], s18, v7
	v_subbrev_co_u32_e64 v11, s[0:1], 0, v11, s[0:1]
	v_cmp_le_u32_e64 s[0:1], s19, v11
	v_cndmask_b32_e64 v13, 0, -1, s[0:1]
	v_cmp_le_u32_e64 s[0:1], s18, v12
	v_cndmask_b32_e64 v12, 0, -1, s[0:1]
	v_cmp_eq_u32_e64 s[0:1], s19, v11
	v_cndmask_b32_e64 v11, v13, v12, s[0:1]
	v_add_co_u32_e64 v12, s[0:1], 2, v4
	v_addc_co_u32_e64 v13, s[0:1], 0, v10, s[0:1]
	v_add_co_u32_e64 v14, s[0:1], 1, v4
	v_addc_co_u32_e64 v15, s[0:1], 0, v10, s[0:1]
	v_subb_co_u32_e32 v8, vcc, v6, v8, vcc
	v_cmp_ne_u32_e64 s[0:1], 0, v11
	v_cmp_le_u32_e32 vcc, s19, v8
	v_cndmask_b32_e64 v11, v15, v13, s[0:1]
	v_cndmask_b32_e64 v13, 0, -1, vcc
	v_cmp_le_u32_e32 vcc, s18, v7
	v_cndmask_b32_e64 v7, 0, -1, vcc
	v_cmp_eq_u32_e32 vcc, s19, v8
	v_cndmask_b32_e32 v7, v13, v7, vcc
	v_cmp_ne_u32_e32 vcc, 0, v7
	v_cndmask_b32_e64 v7, v14, v12, s[0:1]
	v_cndmask_b32_e32 v8, v10, v11, vcc
	v_cndmask_b32_e32 v7, v4, v7, vcc
.LBB0_4:                                ;   in Loop: Header=BB0_2 Depth=1
	s_andn2_saveexec_b64 s[0:1], s[20:21]
	s_cbranch_execz .LBB0_6
; %bb.5:                                ;   in Loop: Header=BB0_2 Depth=1
	v_cvt_f32_u32_e32 v4, s18
	s_sub_i32 s20, 0, s18
	v_rcp_iflag_f32_e32 v4, v4
	v_mul_f32_e32 v4, 0x4f7ffffe, v4
	v_cvt_u32_f32_e32 v4, v4
	v_mul_lo_u32 v7, s20, v4
	v_mul_hi_u32 v7, v4, v7
	v_add_u32_e32 v4, v4, v7
	v_mul_hi_u32 v4, v5, v4
	v_mul_lo_u32 v7, v4, s18
	v_add_u32_e32 v8, 1, v4
	v_sub_u32_e32 v7, v5, v7
	v_subrev_u32_e32 v10, s18, v7
	v_cmp_le_u32_e32 vcc, s18, v7
	v_cndmask_b32_e32 v7, v7, v10, vcc
	v_cndmask_b32_e32 v4, v4, v8, vcc
	v_add_u32_e32 v8, 1, v4
	v_cmp_le_u32_e32 vcc, s18, v7
	v_cndmask_b32_e32 v7, v4, v8, vcc
	v_mov_b32_e32 v8, v3
.LBB0_6:                                ;   in Loop: Header=BB0_2 Depth=1
	s_or_b64 exec, exec, s[0:1]
	v_mul_lo_u32 v4, v8, s18
	v_mul_lo_u32 v12, v7, s19
	v_mad_u64_u32 v[10:11], s[0:1], v7, s18, 0
	s_load_dwordx2 s[0:1], s[6:7], 0x0
	s_add_u32 s16, s16, 1
	v_add3_u32 v4, v11, v12, v4
	v_sub_co_u32_e32 v5, vcc, v5, v10
	v_subb_co_u32_e32 v4, vcc, v6, v4, vcc
	s_waitcnt lgkmcnt(0)
	v_mul_lo_u32 v4, s0, v4
	v_mul_lo_u32 v6, s1, v5
	v_mad_u64_u32 v[1:2], s[0:1], s0, v5, v[1:2]
	s_addc_u32 s17, s17, 0
	s_add_u32 s6, s6, 8
	v_add3_u32 v2, v6, v2, v4
	v_mov_b32_e32 v4, s10
	v_mov_b32_e32 v5, s11
	s_addc_u32 s7, s7, 0
	v_cmp_ge_u64_e32 vcc, s[16:17], v[4:5]
	s_add_u32 s14, s14, 8
	s_addc_u32 s15, s15, 0
	s_cbranch_vccnz .LBB0_9
; %bb.7:                                ;   in Loop: Header=BB0_2 Depth=1
	v_mov_b32_e32 v5, v7
	v_mov_b32_e32 v6, v8
	s_branch .LBB0_2
.LBB0_8:
	v_mov_b32_e32 v8, v6
	v_mov_b32_e32 v7, v5
.LBB0_9:
	s_lshl_b64 s[0:1], s[10:11], 3
	s_add_u32 s0, s12, s0
	s_addc_u32 s1, s13, s1
	s_load_dwordx2 s[6:7], s[0:1], 0x0
	s_load_dwordx2 s[10:11], s[4:5], 0x20
                                        ; implicit-def: $vgpr17
                                        ; implicit-def: $vgpr14
                                        ; implicit-def: $vgpr18
                                        ; implicit-def: $vgpr15
                                        ; implicit-def: $vgpr13
                                        ; implicit-def: $vgpr11
                                        ; implicit-def: $vgpr10
                                        ; implicit-def: $vgpr16
                                        ; implicit-def: $vgpr12
	s_waitcnt lgkmcnt(0)
	v_mad_u64_u32 v[4:5], s[0:1], s6, v7, v[1:2]
	s_mov_b32 s0, 0x2e8ba2f
	v_mul_lo_u32 v3, s6, v8
	v_mul_lo_u32 v6, s7, v7
	v_mul_hi_u32 v1, v0, s0
	v_cmp_gt_u64_e32 vcc, s[10:11], v[7:8]
	v_mov_b32_e32 v2, 0
	v_add3_u32 v5, v6, v5, v3
	v_mul_u32_u24_e32 v1, 0x58, v1
	v_sub_u32_e32 v3, v0, v1
	v_lshlrev_b64 v[0:1], 2, v[4:5]
	v_mov_b32_e32 v4, 0
                                        ; implicit-def: $vgpr8
                                        ; implicit-def: $vgpr7
	s_and_saveexec_b64 s[4:5], vcc
	s_cbranch_execz .LBB0_13
; %bb.10:
	v_mov_b32_e32 v4, 0
	v_mov_b32_e32 v2, s3
	v_add_co_u32_e64 v7, s[0:1], s2, v0
	v_lshlrev_b64 v[5:6], 2, v[3:4]
	v_addc_co_u32_e64 v2, s[0:1], v2, v1, s[0:1]
	v_add_co_u32_e64 v5, s[0:1], v7, v5
	v_addc_co_u32_e64 v6, s[0:1], v2, v6, s[0:1]
	global_load_dword v13, v[5:6], off offset:2288
	global_load_dword v10, v[5:6], off offset:2640
	global_load_dword v17, v[5:6], off
	global_load_dword v15, v[5:6], off offset:352
	global_load_dword v11, v[5:6], off offset:704
	;; [unrolled: 1-line block ×7, first 2 shown]
	v_cmp_gt_u32_e64 s[0:1], 44, v3
                                        ; implicit-def: $vgpr14
	s_and_saveexec_b64 s[6:7], s[0:1]
	s_cbranch_execz .LBB0_12
; %bb.11:
	global_load_dword v4, v[5:6], off offset:1760
	global_load_dword v14, v[5:6], off offset:3696
.LBB0_12:
	s_or_b64 exec, exec, s[6:7]
	v_mov_b32_e32 v2, v3
.LBB0_13:
	s_or_b64 exec, exec, s[4:5]
	v_and_b32_e32 v5, 1, v9
	v_mov_b32_e32 v6, 0x3c8
	v_cmp_eq_u32_e64 s[0:1], 1, v5
	v_cndmask_b32_e64 v5, 0, v6, s[0:1]
	s_waitcnt vmcnt(3)
	v_pk_add_f16 v6, v17, v18 neg_lo:[0,1] neg_hi:[0,1]
	v_lshrrev_b32_e32 v9, 16, v17
	v_lshrrev_b32_e32 v18, 16, v6
	s_waitcnt vmcnt(0)
	v_pk_add_f16 v22, v4, v14 neg_lo:[0,1] neg_hi:[0,1]
	v_fma_f16 v9, v9, 2.0, -v18
	v_pk_fma_f16 v21, v4, 2.0, v22 op_sel_hi:[1,0,1] neg_lo:[0,0,1] neg_hi:[0,0,1]
	v_lshl_add_u32 v4, v3, 3, 0
	v_lshlrev_b32_e32 v14, 2, v5
	v_fma_f16 v17, v17, 2.0, -v6
	v_lshlrev_b32_e32 v9, 16, v9
	v_add_u32_e32 v5, v4, v14
	v_or_b32_sdwa v9, v9, v17 dst_sel:DWORD dst_unused:UNUSED_PAD src0_sel:DWORD src1_sel:WORD_0
	ds_write2_b32 v5, v9, v6 offset1:1
	v_add_u32_e32 v5, 0x58, v3
	v_lshlrev_b32_e32 v6, 3, v5
	v_pk_add_f16 v9, v15, v13 neg_lo:[0,1] neg_hi:[0,1]
	v_add3_u32 v6, 0, v6, v14
	v_pk_fma_f16 v13, v15, 2.0, v9 op_sel_hi:[1,0,1] neg_lo:[0,0,1] neg_hi:[0,0,1]
	v_add_u32_e32 v18, 0xb0, v3
	ds_write2_b32 v6, v13, v9 offset1:1
	v_lshlrev_b32_e32 v6, 3, v18
	v_pk_add_f16 v9, v11, v10 neg_lo:[0,1] neg_hi:[0,1]
	v_add3_u32 v6, 0, v6, v14
	v_pk_fma_f16 v10, v11, 2.0, v9 op_sel_hi:[1,0,1] neg_lo:[0,0,1] neg_hi:[0,0,1]
	v_add_u32_e32 v19, 0x108, v3
	ds_write2_b32 v6, v10, v9 offset1:1
	;; [unrolled: 6-line block ×3, first 2 shown]
	v_lshlrev_b32_e32 v6, 3, v20
	v_pk_add_f16 v8, v7, v12 neg_lo:[0,1] neg_hi:[0,1]
	v_add3_u32 v6, 0, v6, v14
	v_pk_fma_f16 v7, v7, 2.0, v8 op_sel_hi:[1,0,1] neg_lo:[0,0,1] neg_hi:[0,0,1]
	v_add_u32_e32 v23, 0x1b8, v3
	v_cmp_gt_u32_e64 s[0:1], 44, v3
	ds_write2_b32 v6, v7, v8 offset1:1
	s_and_saveexec_b64 s[4:5], s[0:1]
	s_cbranch_execz .LBB0_15
; %bb.14:
	v_lshlrev_b32_e32 v6, 3, v23
	v_add3_u32 v6, 0, v6, v14
	ds_write2_b32 v6, v21, v22 offset1:1
.LBB0_15:
	s_or_b64 exec, exec, s[4:5]
	v_lshlrev_b32_e32 v15, 2, v3
	v_sub_u32_e32 v4, v4, v15
	v_add_u32_e32 v13, v4, v14
	v_add_u32_e32 v4, 0x600, v13
	s_waitcnt lgkmcnt(0)
	s_barrier
	ds_read2_b32 v[8:9], v4 offset0:100 offset1:188
	v_add_u32_e32 v4, 0x800, v13
	ds_read2_b32 v[10:11], v4 offset0:148 offset1:236
	v_add_u32_e32 v4, 0x400, v13
	v_lshlrev_b32_e32 v17, 1, v5
	v_add3_u32 v12, 0, v14, v15
	ds_read2_b32 v[4:5], v4 offset0:8 offset1:96
	ds_read_b32 v25, v12
	ds_read_b32 v24, v13 offset:3344
	ds_read2_b32 v[6:7], v13 offset0:88 offset1:176
	v_lshlrev_b32_e32 v16, 1, v3
	v_lshlrev_b32_e32 v18, 1, v18
	v_lshlrev_b32_e32 v19, 1, v19
	v_lshlrev_b32_e32 v20, 1, v20
	v_lshrrev_b32_e32 v27, 16, v22
	s_and_saveexec_b64 s[4:5], s[0:1]
	s_cbranch_execz .LBB0_17
; %bb.16:
	ds_read_b32 v22, v13 offset:3696
	ds_read_b32 v21, v13 offset:1760
	s_waitcnt lgkmcnt(1)
	v_lshrrev_b32_e32 v27, 16, v22
.LBB0_17:
	s_or_b64 exec, exec, s[4:5]
	v_and_b32_e32 v26, 1, v3
	v_lshlrev_b32_e32 v28, 2, v26
	global_load_dword v28, v28, s[8:9]
	s_waitcnt lgkmcnt(5)
	v_lshrrev_b32_e32 v29, 16, v8
	s_waitcnt lgkmcnt(2)
	v_lshrrev_b32_e32 v30, 16, v25
	s_movk_i32 s4, 0xfc
	s_mov_b32 s7, 0xffff
	s_movk_i32 s5, 0x1fc
	s_waitcnt lgkmcnt(0)
	v_lshrrev_b32_e32 v31, 16, v21
	s_movk_i32 s6, 0x3fc
	v_and_or_b32 v32, v16, s4, v26
	v_and_or_b32 v33, v17, s5, v26
	;; [unrolled: 1-line block ×5, first 2 shown]
	v_lshlrev_b32_e32 v32, 2, v32
	v_lshlrev_b32_e32 v33, 2, v33
	;; [unrolled: 1-line block ×5, first 2 shown]
	v_add3_u32 v32, 0, v32, v14
	v_lshlrev_b32_e32 v23, 1, v23
	s_waitcnt vmcnt(0)
	s_barrier
	v_add3_u32 v33, 0, v33, v14
	v_add3_u32 v34, 0, v34, v14
	;; [unrolled: 1-line block ×4, first 2 shown]
	v_mul_f16_sdwa v37, v28, v8 dst_sel:DWORD dst_unused:UNUSED_PAD src0_sel:WORD_1 src1_sel:DWORD
	v_mul_f16_sdwa v38, v28, v29 dst_sel:DWORD dst_unused:UNUSED_PAD src0_sel:WORD_1 src1_sel:DWORD
	v_pk_mul_f16 v39, v28, v9 op_sel:[0,1]
	v_pk_mul_f16 v40, v28, v10 op_sel:[0,1]
	;; [unrolled: 1-line block ×4, first 2 shown]
	v_mul_f16_sdwa v43, v27, v28 dst_sel:DWORD dst_unused:UNUSED_PAD src0_sel:DWORD src1_sel:WORD_1
	v_mul_f16_sdwa v44, v22, v28 dst_sel:DWORD dst_unused:UNUSED_PAD src0_sel:DWORD src1_sel:WORD_1
	v_fma_f16 v29, v28, v29, -v37
	v_fma_f16 v8, v28, v8, v38
	v_pk_fma_f16 v37, v28, v9, v39 op_sel:[0,0,1] op_sel_hi:[1,1,0]
	v_pk_fma_f16 v9, v28, v9, v39 op_sel:[0,0,1] op_sel_hi:[1,0,0] neg_lo:[1,0,0] neg_hi:[1,0,0]
	v_pk_fma_f16 v38, v28, v10, v40 op_sel:[0,0,1] op_sel_hi:[1,1,0]
	v_pk_fma_f16 v10, v28, v10, v40 op_sel:[0,0,1] op_sel_hi:[1,0,0] neg_lo:[1,0,0] neg_hi:[1,0,0]
	;; [unrolled: 2-line block ×4, first 2 shown]
	v_fma_f16 v22, v22, v28, v43
	v_fma_f16 v27, v27, v28, -v44
	v_sub_f16_e32 v28, v30, v29
	v_sub_f16_e32 v8, v25, v8
	v_bfi_b32 v29, s7, v40, v24
	v_fma_f16 v30, v30, 2.0, -v28
	v_bfi_b32 v9, s7, v37, v9
	v_bfi_b32 v10, s7, v38, v10
	;; [unrolled: 1-line block ×3, first 2 shown]
	v_sub_f16_e32 v22, v21, v22
	v_sub_f16_e32 v24, v31, v27
	v_fma_f16 v27, v25, 2.0, -v8
	v_pack_b32_f16 v8, v8, v28
	v_pk_add_f16 v28, v5, v29 neg_lo:[0,1] neg_hi:[0,1]
	v_lshlrev_b32_e32 v29, 16, v30
	v_pk_add_f16 v9, v6, v9 neg_lo:[0,1] neg_hi:[0,1]
	v_fma_f16 v21, v21, 2.0, -v22
	v_fma_f16 v25, v31, 2.0, -v24
	v_pk_add_f16 v10, v7, v10 neg_lo:[0,1] neg_hi:[0,1]
	v_pk_add_f16 v11, v4, v11 neg_lo:[0,1] neg_hi:[0,1]
	v_or_b32_sdwa v27, v29, v27 dst_sel:DWORD dst_unused:UNUSED_PAD src0_sel:DWORD src1_sel:WORD_0
	v_pk_fma_f16 v6, v6, 2.0, v9 op_sel_hi:[1,0,1] neg_lo:[0,0,1] neg_hi:[0,0,1]
	v_pk_fma_f16 v7, v7, 2.0, v10 op_sel_hi:[1,0,1] neg_lo:[0,0,1] neg_hi:[0,0,1]
	;; [unrolled: 1-line block ×4, first 2 shown]
	ds_write2_b32 v32, v27, v8 offset1:2
	ds_write2_b32 v33, v6, v9 offset1:2
	;; [unrolled: 1-line block ×5, first 2 shown]
	s_and_saveexec_b64 s[4:5], s[0:1]
	s_cbranch_execz .LBB0_19
; %bb.18:
	v_and_or_b32 v4, v23, s6, v26
	v_lshlrev_b32_e32 v4, 2, v4
	s_mov_b32 s6, 0x5040100
	v_add3_u32 v4, 0, v4, v14
	v_perm_b32 v5, v25, v21, s6
	v_perm_b32 v6, v24, v22, s6
	ds_write2_b32 v4, v5, v6 offset1:2
.LBB0_19:
	s_or_b64 exec, exec, s[4:5]
	v_add_u32_e32 v4, 0x600, v13
	v_add_u32_e32 v6, 0x800, v13
	s_waitcnt lgkmcnt(0)
	s_barrier
	ds_read2_b32 v[10:11], v4 offset0:100 offset1:188
	ds_read2_b32 v[4:5], v13 offset0:88 offset1:176
	;; [unrolled: 1-line block ×3, first 2 shown]
	v_add_u32_e32 v6, 0x400, v13
	ds_read2_b32 v[6:7], v6 offset0:8 offset1:96
	ds_read_b32 v26, v12
	ds_read_b32 v28, v13 offset:3344
	s_and_saveexec_b64 s[4:5], s[0:1]
	s_cbranch_execz .LBB0_21
; %bb.20:
	ds_read_b32 v21, v13 offset:1760
	ds_read_b32 v22, v13 offset:3696
	s_waitcnt lgkmcnt(1)
	v_lshrrev_b32_e32 v25, 16, v21
	s_waitcnt lgkmcnt(0)
	v_lshrrev_b32_e32 v24, 16, v22
.LBB0_21:
	s_or_b64 exec, exec, s[4:5]
	v_and_b32_e32 v27, 3, v3
	v_lshlrev_b32_e32 v29, 2, v27
	global_load_dword v29, v29, s[8:9] offset:8
	s_waitcnt lgkmcnt(1)
	v_lshrrev_b32_e32 v30, 16, v26
	s_movk_i32 s4, 0xf8
	s_movk_i32 s5, 0x1f8
	;; [unrolled: 1-line block ×3, first 2 shown]
	v_and_or_b32 v16, v16, s4, v27
	v_and_or_b32 v17, v17, s5, v27
	;; [unrolled: 1-line block ×5, first 2 shown]
	v_lshlrev_b32_e32 v16, 2, v16
	v_lshlrev_b32_e32 v17, 2, v17
	;; [unrolled: 1-line block ×5, first 2 shown]
	v_add3_u32 v16, 0, v16, v14
	s_waitcnt vmcnt(0) lgkmcnt(0)
	s_barrier
	v_add3_u32 v17, 0, v17, v14
	v_add3_u32 v18, 0, v18, v14
	;; [unrolled: 1-line block ×4, first 2 shown]
	v_pk_mul_f16 v31, v29, v28 op_sel:[0,1]
	v_pk_mul_f16 v32, v29, v10 op_sel:[0,1]
	v_pk_fma_f16 v36, v29, v28, v31 op_sel:[0,0,1] op_sel_hi:[1,1,0]
	v_pk_fma_f16 v28, v29, v28, v31 op_sel:[0,0,1] op_sel_hi:[1,0,0] neg_lo:[1,0,0] neg_hi:[1,0,0]
	v_pk_fma_f16 v31, v29, v10, v32 op_sel:[0,0,1] op_sel_hi:[1,1,0]
	v_pk_fma_f16 v10, v29, v10, v32 op_sel:[0,0,1] op_sel_hi:[1,0,0] neg_lo:[1,0,0] neg_hi:[1,0,0]
	v_bfi_b32 v10, s7, v31, v10
	v_pk_add_f16 v10, v26, v10 neg_lo:[0,1] neg_hi:[0,1]
	v_pk_mul_f16 v33, v29, v11 op_sel:[0,1]
	v_pk_mul_f16 v34, v29, v8 op_sel:[0,1]
	;; [unrolled: 1-line block ×3, first 2 shown]
	v_lshrrev_b32_e32 v31, 16, v10
	v_pk_fma_f16 v32, v29, v11, v33 op_sel:[0,0,1] op_sel_hi:[1,1,0]
	v_pk_fma_f16 v11, v29, v11, v33 op_sel:[0,0,1] op_sel_hi:[1,0,0] neg_lo:[1,0,0] neg_hi:[1,0,0]
	v_pk_fma_f16 v33, v29, v8, v34 op_sel:[0,0,1] op_sel_hi:[1,1,0]
	v_pk_fma_f16 v8, v29, v8, v34 op_sel:[0,0,1] op_sel_hi:[1,0,0] neg_lo:[1,0,0] neg_hi:[1,0,0]
	;; [unrolled: 2-line block ×3, first 2 shown]
	v_fma_f16 v30, v30, 2.0, -v31
	v_bfi_b32 v28, s7, v36, v28
	v_bfi_b32 v11, s7, v32, v11
	;; [unrolled: 1-line block ×4, first 2 shown]
	v_fma_f16 v26, v26, 2.0, -v10
	v_lshlrev_b32_e32 v30, 16, v30
	v_pk_add_f16 v28, v7, v28 neg_lo:[0,1] neg_hi:[0,1]
	v_pk_add_f16 v11, v4, v11 neg_lo:[0,1] neg_hi:[0,1]
	;; [unrolled: 1-line block ×4, first 2 shown]
	v_or_b32_sdwa v26, v30, v26 dst_sel:DWORD dst_unused:UNUSED_PAD src0_sel:DWORD src1_sel:WORD_0
	v_pk_fma_f16 v7, v7, 2.0, v28 op_sel_hi:[1,0,1] neg_lo:[0,0,1] neg_hi:[0,0,1]
	v_pk_fma_f16 v4, v4, 2.0, v11 op_sel_hi:[1,0,1] neg_lo:[0,0,1] neg_hi:[0,0,1]
	;; [unrolled: 1-line block ×4, first 2 shown]
	ds_write2_b32 v16, v26, v10 offset1:4
	ds_write2_b32 v17, v4, v11 offset1:4
	;; [unrolled: 1-line block ×5, first 2 shown]
	s_and_saveexec_b64 s[4:5], s[0:1]
	s_cbranch_execz .LBB0_23
; %bb.22:
	v_mul_f16_sdwa v4, v24, v29 dst_sel:DWORD dst_unused:UNUSED_PAD src0_sel:DWORD src1_sel:WORD_1
	v_mul_f16_sdwa v6, v22, v29 dst_sel:DWORD dst_unused:UNUSED_PAD src0_sel:DWORD src1_sel:WORD_1
	v_fma_f16 v4, v22, v29, v4
	v_fma_f16 v6, v24, v29, -v6
	v_sub_f16_e32 v4, v21, v4
	v_sub_f16_e32 v6, v25, v6
	v_and_or_b32 v8, v23, s6, v27
	v_fma_f16 v5, v21, 2.0, -v4
	v_fma_f16 v7, v25, 2.0, -v6
	v_lshlrev_b32_e32 v8, 2, v8
	v_add3_u32 v8, 0, v8, v14
	v_pack_b32_f16 v5, v5, v7
	v_pack_b32_f16 v4, v4, v6
	ds_write2_b32 v8, v5, v4 offset1:4
.LBB0_23:
	s_or_b64 exec, exec, s[4:5]
	v_and_b32_e32 v8, 7, v3
	v_mul_u32_u24_e32 v4, 10, v8
	v_lshlrev_b32_e32 v4, 2, v4
	s_waitcnt lgkmcnt(0)
	s_barrier
	global_load_dwordx4 v[16:19], v4, s[8:9] offset:24
	global_load_dwordx4 v[20:23], v4, s[8:9] offset:40
	global_load_dwordx2 v[9:10], v4, s[8:9] offset:56
	ds_read2_b32 v[24:25], v13 offset0:88 offset1:176
	v_add_u32_e32 v5, 0x400, v13
	v_add3_u32 v11, 0, v15, v14
	ds_read2_b32 v[26:27], v5 offset0:8 offset1:96
	v_add_u32_e32 v4, 0x600, v11
	v_add_u32_e32 v6, 0x800, v11
	;; [unrolled: 1-line block ×3, first 2 shown]
	ds_read_u16 v11, v11 offset:1762
	ds_read_b32 v15, v12
	ds_read2_b32 v[28:29], v4 offset0:56 offset1:144
	ds_read2_b32 v[30:31], v6 offset0:104 offset1:192
	;; [unrolled: 1-line block ×3, first 2 shown]
	s_waitcnt lgkmcnt(6)
	v_lshrrev_b32_e32 v34, 16, v24
	v_lshrrev_b32_e32 v35, 16, v25
	s_waitcnt lgkmcnt(2)
	v_lshrrev_b32_e32 v38, 16, v29
	s_waitcnt lgkmcnt(1)
	v_lshrrev_b32_e32 v39, 16, v30
	v_lshrrev_b32_e32 v40, 16, v31
	s_waitcnt lgkmcnt(0)
	v_lshrrev_b32_e32 v41, 16, v32
	v_lshrrev_b32_e32 v42, 16, v33
	;; [unrolled: 1-line block ×4, first 2 shown]
	s_movk_i32 s0, 0x3abb
	s_movk_i32 s1, 0x36a6
	s_mov_b32 s4, 0xb08e
	s_mov_b32 s5, 0xb93d
	;; [unrolled: 1-line block ×4, first 2 shown]
	s_movk_i32 s13, 0x3853
	s_mov_b32 s12, 0xbb47
	s_movk_i32 s11, 0x3b47
	s_mov_b32 s7, 0xbbeb
	;; [unrolled: 2-line block ×4, first 2 shown]
	s_movk_i32 s18, 0x3482
	s_waitcnt vmcnt(0)
	s_barrier
	v_mul_f16_sdwa v43, v16, v34 dst_sel:DWORD dst_unused:UNUSED_PAD src0_sel:WORD_1 src1_sel:DWORD
	v_mul_f16_sdwa v44, v16, v24 dst_sel:DWORD dst_unused:UNUSED_PAD src0_sel:WORD_1 src1_sel:DWORD
	;; [unrolled: 1-line block ×4, first 2 shown]
	v_mul_f16_sdwa v51, v11, v20 dst_sel:DWORD dst_unused:UNUSED_PAD src0_sel:DWORD src1_sel:WORD_1
	v_mul_f16_sdwa v52, v20, v28 dst_sel:DWORD dst_unused:UNUSED_PAD src0_sel:WORD_1 src1_sel:DWORD
	v_mul_f16_sdwa v53, v38, v21 dst_sel:DWORD dst_unused:UNUSED_PAD src0_sel:DWORD src1_sel:WORD_1
	v_mul_f16_sdwa v54, v29, v21 dst_sel:DWORD dst_unused:UNUSED_PAD src0_sel:DWORD src1_sel:WORD_1
	v_mul_f16_sdwa v55, v39, v22 dst_sel:DWORD dst_unused:UNUSED_PAD src0_sel:DWORD src1_sel:WORD_1
	v_mul_f16_sdwa v57, v40, v23 dst_sel:DWORD dst_unused:UNUSED_PAD src0_sel:DWORD src1_sel:WORD_1
	v_mul_f16_sdwa v59, v41, v9 dst_sel:DWORD dst_unused:UNUSED_PAD src0_sel:DWORD src1_sel:WORD_1
	v_mul_f16_sdwa v60, v32, v9 dst_sel:DWORD dst_unused:UNUSED_PAD src0_sel:DWORD src1_sel:WORD_1
	v_mul_f16_sdwa v61, v42, v10 dst_sel:DWORD dst_unused:UNUSED_PAD src0_sel:DWORD src1_sel:WORD_1
	v_fma_f16 v24, v16, v24, v43
	v_fma_f16 v16, v16, v34, -v44
	v_mul_f16_sdwa v47, v18, v36 dst_sel:DWORD dst_unused:UNUSED_PAD src0_sel:WORD_1 src1_sel:DWORD
	v_mul_f16_sdwa v48, v18, v26 dst_sel:DWORD dst_unused:UNUSED_PAD src0_sel:WORD_1 src1_sel:DWORD
	v_mul_f16_sdwa v56, v30, v22 dst_sel:DWORD dst_unused:UNUSED_PAD src0_sel:DWORD src1_sel:WORD_1
	v_mul_f16_sdwa v58, v31, v23 dst_sel:DWORD dst_unused:UNUSED_PAD src0_sel:DWORD src1_sel:WORD_1
	v_mul_f16_sdwa v62, v33, v10 dst_sel:DWORD dst_unused:UNUSED_PAD src0_sel:DWORD src1_sel:WORD_1
	v_fma_f16 v25, v17, v25, v45
	v_fma_f16 v17, v17, v35, -v46
	v_fma_f16 v28, v20, v28, v51
	v_fma_f16 v29, v29, v21, v53
	v_fma_f16 v11, v11, v20, -v52
	v_fma_f16 v20, v38, v21, -v54
	v_fma_f16 v21, v30, v22, v55
	v_fma_f16 v30, v31, v23, v57
	v_fma_f16 v31, v41, v9, -v60
	v_fma_f16 v9, v32, v9, v59
	v_fma_f16 v32, v33, v10, v61
	v_add_f16_e32 v33, v24, v15
	v_add_f16_sdwa v34, v16, v15 dst_sel:DWORD dst_unused:UNUSED_PAD src0_sel:DWORD src1_sel:WORD_1
	v_mul_f16_sdwa v49, v19, v37 dst_sel:DWORD dst_unused:UNUSED_PAD src0_sel:WORD_1 src1_sel:DWORD
	v_mul_f16_sdwa v50, v19, v27 dst_sel:DWORD dst_unused:UNUSED_PAD src0_sel:WORD_1 src1_sel:DWORD
	v_fma_f16 v26, v18, v26, v47
	v_fma_f16 v18, v18, v36, -v48
	v_add_f16_e32 v33, v33, v25
	v_add_f16_e32 v34, v34, v17
	v_fma_f16 v27, v19, v27, v49
	v_fma_f16 v19, v19, v37, -v50
	v_add_f16_e32 v33, v33, v26
	v_add_f16_e32 v34, v34, v18
	v_add_f16_e32 v33, v33, v27
	v_add_f16_e32 v34, v34, v19
	v_add_f16_e32 v33, v33, v28
	v_add_f16_e32 v34, v34, v11
	v_fma_f16 v22, v39, v22, -v56
	v_add_f16_e32 v33, v33, v29
	v_add_f16_e32 v34, v34, v20
	v_fma_f16 v23, v40, v23, -v58
	v_add_f16_e32 v33, v33, v21
	v_add_f16_e32 v34, v34, v22
	;; [unrolled: 3-line block ×3, first 2 shown]
	v_add_f16_e32 v36, v16, v10
	v_sub_f16_e32 v16, v16, v10
	v_add_f16_e32 v33, v33, v9
	v_add_f16_e32 v34, v34, v31
	;; [unrolled: 1-line block ×3, first 2 shown]
	v_sub_f16_e32 v24, v24, v32
	v_mul_f16_e32 v37, 0xb853, v16
	v_add_f16_e32 v32, v33, v32
	v_add_f16_sdwa v10, v34, v10 dst_sel:WORD_1 dst_unused:UNUSED_PAD src0_sel:DWORD src1_sel:DWORD
	v_mul_f16_e32 v34, 0xbb47, v16
	v_mul_f16_e32 v38, 0xbbeb, v16
	;; [unrolled: 1-line block ×4, first 2 shown]
	v_or_b32_e32 v10, v10, v32
	v_fma_f16 v32, v35, s0, v37
	v_fma_f16 v33, v35, s0, -v37
	v_fma_f16 v37, v35, s1, v34
	v_fma_f16 v34, v35, s1, -v34
	;; [unrolled: 2-line block ×5, first 2 shown]
	v_mul_f16_e32 v35, 0x3abb, v36
	v_mul_f16_e32 v44, 0x36a6, v36
	v_mul_f16_e32 v46, 0xb08e, v36
	v_mul_f16_e32 v48, 0xb93d, v36
	v_mul_f16_e32 v36, 0xbbad, v36
	v_fma_f16 v43, v24, s13, v35
	v_fma_f16 v35, v24, s14, v35
	;; [unrolled: 1-line block ×10, first 2 shown]
	v_add_f16_e32 v32, v32, v15
	v_add_f16_sdwa v36, v43, v15 dst_sel:DWORD dst_unused:UNUSED_PAD src0_sel:DWORD src1_sel:WORD_1
	v_add_f16_e32 v33, v33, v15
	v_add_f16_sdwa v35, v35, v15 dst_sel:DWORD dst_unused:UNUSED_PAD src0_sel:DWORD src1_sel:WORD_1
	;; [unrolled: 2-line block ×10, first 2 shown]
	v_add_f16_e32 v24, v25, v9
	v_sub_f16_e32 v9, v25, v9
	v_add_f16_e32 v25, v17, v31
	v_sub_f16_e32 v17, v17, v31
	v_mul_f16_e32 v31, 0xbb47, v17
	v_fma_f16 v50, v24, s1, v31
	v_add_f16_e32 v32, v50, v32
	v_mul_f16_e32 v50, 0x36a6, v25
	v_fma_f16 v31, v24, s1, -v31
	v_add_f16_e32 v31, v31, v33
	v_fma_f16 v33, v9, s12, v50
	v_add_f16_e32 v33, v33, v35
	v_mul_f16_e32 v35, 0xba0c, v17
	v_fma_f16 v51, v9, s11, v50
	v_fma_f16 v50, v24, s5, v35
	v_add_f16_e32 v37, v50, v37
	v_mul_f16_e32 v50, 0xb93d, v25
	v_fma_f16 v35, v24, s5, -v35
	v_add_f16_e32 v34, v35, v34
	v_fma_f16 v35, v9, s15, v50
	v_add_f16_e32 v35, v35, v44
	v_mul_f16_e32 v44, 0x3482, v17
	v_add_f16_e32 v36, v51, v36
	v_fma_f16 v51, v9, s16, v50
	v_fma_f16 v50, v24, s6, v44
	v_add_f16_e32 v39, v50, v39
	v_mul_f16_e32 v50, 0xbbad, v25
	v_fma_f16 v44, v24, s6, -v44
	v_add_f16_e32 v38, v44, v38
	v_fma_f16 v44, v9, s18, v50
	v_add_f16_e32 v44, v44, v46
	v_mul_f16_e32 v46, 0x3beb, v17
	v_add_f16_e32 v43, v51, v43
	v_fma_f16 v51, v9, s17, v50
	v_fma_f16 v50, v24, s4, v46
	v_add_f16_e32 v41, v50, v41
	v_mul_f16_e32 v50, 0xb08e, v25
	v_fma_f16 v46, v24, s4, -v46
	v_add_f16_e32 v40, v46, v40
	v_fma_f16 v46, v9, s10, v50
	v_mul_f16_e32 v17, 0x3853, v17
	v_add_f16_e32 v46, v46, v48
	v_fma_f16 v48, v24, s0, v17
	v_mul_f16_e32 v25, 0x3abb, v25
	v_add_f16_e32 v45, v51, v45
	v_fma_f16 v51, v9, s7, v50
	v_add_f16_e32 v42, v48, v42
	v_fma_f16 v48, v9, s14, v25
	v_fma_f16 v17, v24, s0, -v17
	v_fma_f16 v9, v9, s13, v25
	v_add_f16_e32 v24, v18, v23
	v_sub_f16_e32 v18, v18, v23
	v_add_f16_e32 v9, v9, v15
	v_add_f16_e32 v15, v26, v30
	v_mul_f16_e32 v23, 0xbbeb, v18
	v_add_f16_e32 v16, v17, v16
	v_sub_f16_e32 v17, v26, v30
	v_fma_f16 v25, v15, s4, v23
	v_mul_f16_e32 v26, 0xb08e, v24
	v_fma_f16 v23, v15, s4, -v23
	v_fma_f16 v30, v17, s10, v26
	v_add_f16_e32 v23, v23, v31
	v_fma_f16 v26, v17, s7, v26
	v_mul_f16_e32 v31, 0x3482, v18
	v_add_f16_e32 v25, v25, v32
	v_add_f16_e32 v26, v26, v33
	v_fma_f16 v32, v15, s6, v31
	v_mul_f16_e32 v33, 0xbbad, v24
	v_fma_f16 v31, v15, s6, -v31
	v_add_f16_e32 v30, v30, v36
	v_fma_f16 v36, v17, s17, v33
	v_add_f16_e32 v31, v31, v34
	v_fma_f16 v33, v17, s18, v33
	v_mul_f16_e32 v34, 0x3b47, v18
	v_add_f16_e32 v33, v33, v35
	v_fma_f16 v35, v15, s1, v34
	v_fma_f16 v34, v15, s1, -v34
	v_add_f16_e32 v34, v34, v38
	v_mul_f16_e32 v38, 0xb853, v18
	v_add_f16_e32 v32, v32, v37
	v_add_f16_e32 v36, v36, v43
	v_mul_f16_e32 v37, 0x36a6, v24
	v_fma_f16 v43, v15, s0, v38
	v_add_f16_e32 v35, v35, v39
	v_fma_f16 v39, v17, s12, v37
	v_fma_f16 v37, v17, s11, v37
	v_add_f16_e32 v41, v43, v41
	v_mul_f16_e32 v43, 0x3abb, v24
	v_fma_f16 v38, v15, s0, -v38
	v_mul_f16_e32 v18, 0xba0c, v18
	v_add_f16_e32 v37, v37, v44
	v_fma_f16 v44, v17, s13, v43
	v_add_f16_e32 v38, v38, v40
	v_fma_f16 v40, v17, s14, v43
	v_fma_f16 v43, v15, s5, v18
	v_mul_f16_e32 v24, 0xb93d, v24
	v_fma_f16 v15, v15, s5, -v18
	v_add_f16_e32 v15, v15, v16
	v_fma_f16 v16, v17, s15, v24
	v_add_f16_e32 v18, v19, v22
	v_sub_f16_e32 v19, v19, v22
	v_add_f16_e32 v42, v43, v42
	v_fma_f16 v43, v17, s16, v24
	v_add_f16_e32 v9, v16, v9
	v_add_f16_e32 v16, v27, v21
	v_sub_f16_e32 v17, v27, v21
	v_mul_f16_e32 v21, 0xba0c, v19
	v_fma_f16 v22, v16, s5, v21
	v_mul_f16_e32 v24, 0xb93d, v18
	v_fma_f16 v21, v16, s5, -v21
	v_add_f16_e32 v22, v22, v25
	v_fma_f16 v25, v17, s16, v24
	v_add_f16_e32 v21, v21, v23
	v_fma_f16 v23, v17, s15, v24
	v_mul_f16_e32 v24, 0x3beb, v19
	v_add_f16_e32 v23, v23, v26
	v_fma_f16 v26, v16, s4, v24
	v_mul_f16_e32 v27, 0xb08e, v18
	v_fma_f16 v24, v16, s4, -v24
	v_add_f16_e32 v25, v25, v30
	v_fma_f16 v30, v17, s7, v27
	v_add_f16_e32 v24, v24, v31
	v_fma_f16 v27, v17, s10, v27
	v_mul_f16_e32 v31, 0xb853, v19
	v_add_f16_e32 v26, v26, v32
	v_add_f16_e32 v27, v27, v33
	v_fma_f16 v32, v16, s0, v31
	v_mul_f16_e32 v33, 0x3abb, v18
	v_fma_f16 v31, v16, s0, -v31
	v_add_f16_e32 v32, v32, v35
	v_fma_f16 v35, v17, s13, v33
	v_add_f16_e32 v31, v31, v34
	v_fma_f16 v33, v17, s14, v33
	v_mul_f16_e32 v34, 0xb482, v19
	v_add_f16_e32 v39, v39, v45
	v_add_f16_e32 v30, v30, v36
	;; [unrolled: 1-line block ×3, first 2 shown]
	v_fma_f16 v36, v16, s6, v34
	v_mul_f16_e32 v37, 0xbbad, v18
	v_fma_f16 v34, v16, s6, -v34
	v_mul_f16_e32 v19, 0x3b47, v19
	v_add_f16_e32 v40, v40, v46
	v_add_f16_e32 v35, v35, v39
	v_fma_f16 v39, v17, s18, v37
	v_add_f16_e32 v34, v34, v38
	v_fma_f16 v37, v17, s17, v37
	v_fma_f16 v38, v16, s1, v19
	v_mul_f16_e32 v18, 0x36a6, v18
	v_fma_f16 v16, v16, s1, -v19
	v_add_f16_e32 v37, v37, v40
	v_fma_f16 v40, v17, s12, v18
	v_add_f16_e32 v15, v16, v15
	v_fma_f16 v16, v17, s11, v18
	v_add_f16_e32 v18, v11, v20
	v_sub_f16_e32 v11, v11, v20
	v_add_f16_e32 v9, v16, v9
	v_add_f16_e32 v16, v28, v29
	v_mul_f16_e32 v19, 0xb482, v11
	v_fma_f16 v20, v16, s6, v19
	v_sub_f16_e32 v17, v28, v29
	v_add_f16_e32 v20, v20, v22
	v_mul_f16_e32 v22, 0xbbad, v18
	v_fma_f16 v19, v16, s6, -v19
	v_fma_f16 v28, v17, s18, v22
	v_add_f16_e32 v19, v19, v21
	v_fma_f16 v21, v17, s17, v22
	v_mul_f16_e32 v22, 0x3853, v11
	v_add_f16_e32 v21, v21, v23
	v_fma_f16 v23, v16, s0, v22
	v_add_f16_e32 v23, v23, v26
	v_mul_f16_e32 v26, 0x3abb, v18
	v_fma_f16 v22, v16, s0, -v22
	v_add_f16_e32 v25, v28, v25
	v_fma_f16 v28, v17, s14, v26
	v_add_f16_e32 v22, v22, v24
	v_fma_f16 v24, v17, s13, v26
	v_mul_f16_e32 v26, 0xba0c, v11
	v_add_f16_e32 v24, v24, v27
	v_fma_f16 v27, v16, s5, v26
	v_fma_f16 v26, v16, s5, -v26
	v_mul_f16_e32 v29, 0xb93d, v18
	v_add_f16_e32 v26, v26, v31
	v_mul_f16_e32 v31, 0x3b47, v11
	v_add_f16_e32 v28, v28, v30
	v_add_f16_e32 v27, v27, v32
	v_fma_f16 v30, v17, s16, v29
	v_fma_f16 v29, v17, s15, v29
	;; [unrolled: 1-line block ×3, first 2 shown]
	v_fma_f16 v31, v16, s1, -v31
	v_mul_f16_e32 v11, 0xbbeb, v11
	v_add_f16_e32 v29, v29, v33
	v_mul_f16_e32 v33, 0x36a6, v18
	v_add_f16_e32 v31, v31, v34
	v_fma_f16 v34, v16, s4, v11
	v_mul_f16_e32 v18, 0xb08e, v18
	v_fma_f16 v11, v16, s4, -v11
	v_add_f16_e32 v11, v11, v15
	v_fma_f16 v15, v17, s7, v18
	v_add_f16_e32 v9, v15, v9
	v_lshrrev_b32_e32 v15, 3, v3
	v_mul_u32_u24_e32 v15, 0x58, v15
	v_add_f16_e32 v47, v51, v47
	v_add_f16_e32 v48, v48, v49
	v_or_b32_e32 v8, v15, v8
	v_add_f16_e32 v44, v44, v47
	v_add_f16_e32 v43, v43, v48
	;; [unrolled: 1-line block ×3, first 2 shown]
	v_lshlrev_b32_e32 v8, 2, v8
	v_add_f16_e32 v39, v39, v44
	v_add_f16_e32 v38, v38, v42
	;; [unrolled: 1-line block ×5, first 2 shown]
	v_fma_f16 v35, v17, s12, v33
	v_fma_f16 v36, v17, s10, v18
	v_add3_u32 v8, 0, v8, v14
	v_pack_b32_f16 v14, v20, v25
	v_add_f16_e32 v35, v35, v39
	v_fma_f16 v33, v17, s11, v33
	v_add_f16_e32 v34, v34, v38
	v_add_f16_e32 v36, v36, v40
	ds_write2_b32 v8, v10, v14 offset1:8
	v_pack_b32_f16 v10, v23, v28
	v_pack_b32_f16 v14, v27, v30
	v_add_f16_e32 v33, v33, v37
	ds_write2_b32 v8, v10, v14 offset0:16 offset1:24
	v_pack_b32_f16 v10, v32, v35
	v_pack_b32_f16 v14, v34, v36
	ds_write2_b32 v8, v10, v14 offset0:32 offset1:40
	v_pack_b32_f16 v9, v11, v9
	v_pack_b32_f16 v10, v31, v33
	;; [unrolled: 3-line block ×3, first 2 shown]
	ds_write2_b32 v8, v9, v10 offset0:64 offset1:72
	v_pack_b32_f16 v9, v19, v21
	ds_write_b32 v8, v9 offset:320
	s_waitcnt lgkmcnt(0)
	s_barrier
	s_and_saveexec_b64 s[10:11], vcc
	s_cbranch_execz .LBB0_25
; %bb.24:
	v_mul_u32_u24_e32 v3, 10, v3
	v_lshlrev_b32_e32 v3, 2, v3
	global_load_dwordx4 v[8:11], v3, s[8:9] offset:344
	global_load_dwordx2 v[18:19], v3, s[8:9] offset:376
	global_load_dwordx4 v[14:17], v3, s[8:9] offset:360
	ds_read2_b32 v[20:21], v13 offset0:88 offset1:176
	ds_read2_b32 v[22:23], v7 offset0:24 offset1:112
	ds_read_b32 v7, v12
	ds_read2_b32 v[12:13], v5 offset0:8 offset1:96
	ds_read2_b32 v[5:6], v6 offset0:104 offset1:192
	;; [unrolled: 1-line block ×3, first 2 shown]
	s_waitcnt lgkmcnt(5)
	v_lshrrev_b32_e32 v24, 16, v20
	s_waitcnt lgkmcnt(4)
	v_lshrrev_b32_e32 v25, 16, v23
	v_lshrrev_b32_e32 v26, 16, v21
	;; [unrolled: 1-line block ×3, first 2 shown]
	s_waitcnt lgkmcnt(2)
	v_lshrrev_b32_e32 v28, 16, v12
	s_waitcnt lgkmcnt(1)
	v_lshrrev_b32_e32 v29, 16, v6
	v_lshrrev_b32_e32 v30, 16, v13
	;; [unrolled: 1-line block ×3, first 2 shown]
	s_waitcnt lgkmcnt(0)
	v_lshrrev_b32_e32 v32, 16, v3
	v_lshrrev_b32_e32 v33, 16, v4
	s_waitcnt vmcnt(2)
	v_mul_f16_sdwa v34, v8, v24 dst_sel:DWORD dst_unused:UNUSED_PAD src0_sel:WORD_1 src1_sel:DWORD
	s_waitcnt vmcnt(1)
	v_mul_f16_sdwa v35, v19, v25 dst_sel:DWORD dst_unused:UNUSED_PAD src0_sel:WORD_1 src1_sel:DWORD
	v_mul_f16_sdwa v36, v23, v19 dst_sel:DWORD dst_unused:UNUSED_PAD src0_sel:DWORD src1_sel:WORD_1
	v_mul_f16_sdwa v37, v8, v20 dst_sel:DWORD dst_unused:UNUSED_PAD src0_sel:WORD_1 src1_sel:DWORD
	v_mul_f16_sdwa v38, v9, v26 dst_sel:DWORD dst_unused:UNUSED_PAD src0_sel:WORD_1 src1_sel:DWORD
	;; [unrolled: 1-line block ×3, first 2 shown]
	v_fma_f16 v20, v8, v20, v34
	v_fma_f16 v23, v19, v23, v35
	v_mul_f16_sdwa v40, v22, v18 dst_sel:DWORD dst_unused:UNUSED_PAD src0_sel:DWORD src1_sel:WORD_1
	v_mul_f16_sdwa v41, v9, v21 dst_sel:DWORD dst_unused:UNUSED_PAD src0_sel:WORD_1 src1_sel:DWORD
	v_mul_f16_sdwa v42, v10, v28 dst_sel:DWORD dst_unused:UNUSED_PAD src0_sel:WORD_1 src1_sel:DWORD
	s_waitcnt vmcnt(0)
	v_mul_f16_sdwa v43, v17, v29 dst_sel:DWORD dst_unused:UNUSED_PAD src0_sel:WORD_1 src1_sel:DWORD
	v_fma_f16 v19, v19, v25, -v36
	v_fma_f16 v8, v8, v24, -v37
	v_fma_f16 v21, v9, v21, v38
	v_fma_f16 v22, v18, v22, v39
	v_sub_f16_e32 v24, v20, v23
	v_mul_f16_sdwa v44, v6, v17 dst_sel:DWORD dst_unused:UNUSED_PAD src0_sel:DWORD src1_sel:WORD_1
	v_mul_f16_sdwa v45, v10, v12 dst_sel:DWORD dst_unused:UNUSED_PAD src0_sel:WORD_1 src1_sel:DWORD
	v_mul_f16_sdwa v46, v11, v30 dst_sel:DWORD dst_unused:UNUSED_PAD src0_sel:WORD_1 src1_sel:DWORD
	;; [unrolled: 1-line block ×3, first 2 shown]
	v_fma_f16 v18, v18, v27, -v40
	v_fma_f16 v9, v9, v26, -v41
	v_fma_f16 v12, v10, v12, v42
	v_fma_f16 v6, v17, v6, v43
	v_add_f16_e32 v25, v8, v19
	v_sub_f16_e32 v26, v21, v22
	v_mul_f16_e32 v37, 0xb853, v24
	v_mul_f16_sdwa v48, v5, v16 dst_sel:DWORD dst_unused:UNUSED_PAD src0_sel:DWORD src1_sel:WORD_1
	v_mul_f16_sdwa v49, v11, v13 dst_sel:DWORD dst_unused:UNUSED_PAD src0_sel:WORD_1 src1_sel:DWORD
	v_fma_f16 v17, v17, v29, -v44
	v_fma_f16 v10, v10, v28, -v45
	v_fma_f16 v13, v11, v13, v46
	v_fma_f16 v5, v16, v5, v47
	v_add_f16_e32 v27, v9, v18
	v_sub_f16_e32 v28, v12, v6
	v_mul_f16_e32 v38, 0xbb47, v26
	v_fma_f16 v43, v25, s0, v37
	v_mul_f16_sdwa v50, v14, v32 dst_sel:DWORD dst_unused:UNUSED_PAD src0_sel:WORD_1 src1_sel:DWORD
	v_mul_f16_sdwa v51, v15, v33 dst_sel:DWORD dst_unused:UNUSED_PAD src0_sel:WORD_1 src1_sel:DWORD
	v_fma_f16 v16, v16, v31, -v48
	v_fma_f16 v11, v11, v30, -v49
	v_add_f16_e32 v29, v10, v17
	v_sub_f16_e32 v30, v13, v5
	v_sub_f16_e32 v35, v8, v19
	v_mul_f16_e32 v39, 0xbbeb, v28
	v_fma_f16 v44, v27, s1, v38
	v_add_f16_sdwa v43, v43, v7 dst_sel:DWORD dst_unused:UNUSED_PAD src0_sel:DWORD src1_sel:WORD_1
	v_mul_f16_sdwa v52, v4, v15 dst_sel:DWORD dst_unused:UNUSED_PAD src0_sel:DWORD src1_sel:WORD_1
	v_mul_f16_sdwa v53, v14, v3 dst_sel:DWORD dst_unused:UNUSED_PAD src0_sel:WORD_1 src1_sel:DWORD
	v_fma_f16 v3, v14, v3, v50
	v_fma_f16 v4, v15, v4, v51
	v_add_f16_e32 v31, v11, v16
	v_add_f16_e32 v34, v20, v23
	v_mul_f16_e32 v40, 0xba0c, v30
	v_mul_f16_e32 v42, 0xb853, v35
	v_fma_f16 v45, v29, s4, v39
	v_add_f16_e32 v43, v43, v44
	v_sub_f16_e32 v44, v9, v18
	v_fma_f16 v15, v15, v33, -v52
	v_fma_f16 v14, v14, v32, -v53
	v_sub_f16_e32 v32, v3, v4
	v_add_f16_e32 v36, v21, v22
	v_fma_f16 v46, v31, s5, v40
	v_fma_f16 v48, v34, s0, -v42
	v_add_f16_e32 v43, v43, v45
	v_mul_f16_e32 v45, 0xbb47, v44
	v_add_f16_e32 v33, v14, v15
	v_mul_f16_e32 v41, 0xb482, v32
	v_add_f16_e32 v48, v48, v7
	v_add_f16_e32 v43, v43, v46
	v_fma_f16 v46, v36, s1, -v45
	v_fma_f16 v47, v33, s6, v41
	v_add_f16_e32 v46, v48, v46
	v_sub_f16_e32 v48, v10, v17
	v_add_f16_e32 v43, v43, v47
	v_add_f16_e32 v47, v12, v6
	v_mul_f16_e32 v49, 0xbbeb, v48
	v_fma_f16 v50, v47, s4, -v49
	v_sub_f16_e32 v51, v11, v16
	v_add_f16_e32 v46, v46, v50
	v_add_f16_e32 v50, v13, v5
	v_mul_f16_e32 v52, 0xba0c, v51
	v_fma_f16 v53, v50, s5, -v52
	;; [unrolled: 5-line block ×3, first 2 shown]
	v_add_f16_e32 v46, v46, v56
	v_mul_f16_e32 v56, 0xbb47, v24
	v_fma_f16 v57, v25, s1, v56
	v_mul_f16_e32 v58, 0xba0c, v26
	v_add_f16_sdwa v57, v57, v7 dst_sel:DWORD dst_unused:UNUSED_PAD src0_sel:DWORD src1_sel:WORD_1
	v_fma_f16 v59, v27, s5, v58
	v_add_f16_e32 v57, v57, v59
	v_mul_f16_e32 v59, 0x3482, v28
	v_fma_f16 v60, v29, s6, v59
	v_add_f16_e32 v57, v57, v60
	v_mul_f16_e32 v60, 0x3beb, v30
	v_fma_f16 v61, v31, s4, v60
	v_add_f16_e32 v57, v57, v61
	v_mul_f16_e32 v61, 0x3853, v32
	v_fma_f16 v62, v33, s0, v61
	v_add_f16_e32 v57, v57, v62
	v_mul_f16_e32 v62, 0xbb47, v35
	v_fma_f16 v63, v34, s1, -v62
	v_mul_f16_e32 v64, 0xba0c, v44
	v_add_f16_e32 v63, v63, v7
	v_fma_f16 v65, v36, s5, -v64
	v_add_f16_e32 v63, v63, v65
	v_mul_f16_e32 v65, 0x3482, v48
	v_fma_f16 v66, v47, s6, -v65
	v_add_f16_e32 v63, v63, v66
	v_mul_f16_e32 v66, 0x3beb, v51
	v_fma_f16 v67, v50, s4, -v66
	v_add_f16_e32 v63, v63, v67
	v_mul_f16_e32 v67, 0x3853, v54
	v_fma_f16 v68, v53, s0, -v67
	v_add_f16_e32 v63, v63, v68
	v_mul_f16_e32 v68, 0xbbeb, v24
	v_fma_f16 v69, v25, s4, v68
	v_mul_f16_e32 v70, 0x3482, v26
	v_add_f16_sdwa v69, v69, v7 dst_sel:DWORD dst_unused:UNUSED_PAD src0_sel:DWORD src1_sel:WORD_1
	v_fma_f16 v71, v27, s6, v70
	v_add_f16_e32 v69, v69, v71
	v_mul_f16_e32 v71, 0x3b47, v28
	v_fma_f16 v72, v29, s1, v71
	v_add_f16_e32 v69, v69, v72
	v_mul_f16_e32 v72, 0xb853, v30
	v_fma_f16 v73, v31, s0, v72
	v_add_f16_e32 v69, v69, v73
	v_mul_f16_e32 v73, 0xba0c, v32
	v_fma_f16 v74, v33, s5, v73
	v_add_f16_e32 v69, v69, v74
	v_mul_f16_e32 v74, 0xbbeb, v35
	v_fma_f16 v75, v34, s4, -v74
	v_mul_f16_e32 v76, 0x3482, v44
	v_add_f16_e32 v75, v75, v7
	v_fma_f16 v77, v36, s6, -v76
	v_add_f16_e32 v75, v75, v77
	v_mul_f16_e32 v77, 0x3b47, v48
	v_fma_f16 v78, v47, s1, -v77
	v_add_f16_e32 v75, v75, v78
	v_mul_f16_e32 v78, 0xb853, v51
	v_fma_f16 v79, v50, s0, -v78
	v_add_f16_e32 v75, v75, v79
	v_mul_f16_e32 v79, 0xba0c, v54
	v_fma_f16 v80, v53, s5, -v79
	;; [unrolled: 30-line block ×3, first 2 shown]
	v_mul_f16_e32 v24, 0xb482, v24
	v_add_f16_e32 v87, v87, v92
	v_fma_f16 v92, v25, s6, v24
	v_mul_f16_e32 v26, 0x3853, v26
	v_fma_f16 v24, v25, s6, -v24
	v_fma_f16 v93, v27, s0, v26
	v_mul_f16_e32 v28, 0xba0c, v28
	v_add_f16_sdwa v24, v24, v7 dst_sel:DWORD dst_unused:UNUSED_PAD src0_sel:DWORD src1_sel:WORD_1
	v_fma_f16 v26, v27, s0, -v26
	v_mul_f16_e32 v30, 0x3b47, v30
	v_add_f16_e32 v24, v24, v26
	v_fma_f16 v26, v29, s5, -v28
	v_mul_f16_e32 v32, 0xbbeb, v32
	v_add_f16_e32 v24, v24, v26
	v_fma_f16 v26, v31, s1, -v30
	v_mul_f16_e32 v35, 0xb482, v35
	v_add_f16_e32 v24, v24, v26
	v_fma_f16 v26, v33, s4, -v32
	v_add_f16_sdwa v92, v92, v7 dst_sel:DWORD dst_unused:UNUSED_PAD src0_sel:DWORD src1_sel:WORD_1
	v_mul_f16_e32 v44, 0x3853, v44
	v_add_f16_e32 v24, v24, v26
	v_fma_f16 v26, v34, s6, v35
	v_add_f16_e32 v92, v92, v93
	v_fma_f16 v93, v29, s5, v28
	v_mul_f16_e32 v48, 0xba0c, v48
	v_add_f16_e32 v26, v26, v7
	v_fma_f16 v28, v36, s0, v44
	v_mul_f16_e32 v51, 0x3b47, v51
	;; [unrolled: 3-line block ×3, first 2 shown]
	v_add_f16_e32 v26, v26, v28
	v_fma_f16 v28, v50, s1, v51
	v_add_f16_e32 v26, v26, v28
	v_fma_f16 v28, v53, s4, v54
	v_add_f16_e32 v26, v26, v28
	v_fma_f16 v28, v25, s5, -v80
	v_add_f16_e32 v92, v92, v93
	v_fma_f16 v93, v31, s1, v30
	v_add_f16_sdwa v28, v28, v7 dst_sel:DWORD dst_unused:UNUSED_PAD src0_sel:DWORD src1_sel:WORD_1
	v_fma_f16 v30, v27, s4, -v82
	v_add_f16_e32 v28, v28, v30
	v_fma_f16 v30, v29, s0, -v83
	v_add_f16_e32 v28, v28, v30
	;; [unrolled: 2-line block ×4, first 2 shown]
	v_fma_f16 v30, v34, s5, v86
	v_add_f16_e32 v92, v92, v93
	v_fma_f16 v93, v33, s4, v32
	v_add_f16_e32 v30, v30, v7
	;; [unrolled: 2-line block ×6, first 2 shown]
	v_fma_f16 v32, v25, s4, -v68
	v_add_f16_e32 v92, v92, v93
	v_fma_f16 v93, v34, s6, -v35
	v_add_f16_sdwa v32, v32, v7 dst_sel:DWORD dst_unused:UNUSED_PAD src0_sel:DWORD src1_sel:WORD_1
	v_fma_f16 v35, v27, s6, -v70
	v_add_f16_e32 v32, v32, v35
	v_fma_f16 v35, v29, s1, -v71
	v_add_f16_e32 v32, v32, v35
	v_fma_f16 v35, v31, s0, -v72
	v_add_f16_e32 v32, v32, v35
	v_fma_f16 v35, v33, s5, -v73
	v_add_f16_e32 v32, v32, v35
	v_fma_f16 v35, v34, s4, v74
	v_fma_f16 v94, v36, s0, -v44
	v_add_f16_e32 v35, v35, v7
	v_fma_f16 v44, v36, s6, v76
	v_add_f16_e32 v35, v35, v44
	v_fma_f16 v44, v47, s1, v77
	;; [unrolled: 2-line block ×4, first 2 shown]
	v_add_f16_e32 v93, v93, v7
	v_add_f16_e32 v35, v35, v44
	v_fma_f16 v44, v25, s1, -v56
	v_fma_f16 v25, v25, s0, -v37
	v_add_f16_e32 v93, v93, v94
	v_fma_f16 v94, v47, s5, -v48
	v_add_f16_sdwa v44, v44, v7 dst_sel:DWORD dst_unused:UNUSED_PAD src0_sel:DWORD src1_sel:WORD_1
	v_fma_f16 v48, v27, s5, -v58
	v_fma_f16 v27, v27, s1, -v38
	v_add_f16_sdwa v25, v25, v7 dst_sel:DWORD dst_unused:UNUSED_PAD src0_sel:DWORD src1_sel:WORD_1
	v_add_f16_e32 v44, v44, v48
	v_fma_f16 v48, v29, s6, -v59
	v_add_f16_e32 v25, v25, v27
	v_fma_f16 v27, v29, s4, -v39
	;; [unrolled: 2-line block ×6, first 2 shown]
	v_add_f16_e32 v44, v44, v48
	v_fma_f16 v48, v34, s1, v62
	v_add_f16_e32 v25, v25, v27
	v_fma_f16 v27, v34, s0, v42
	v_add_f16_e32 v48, v48, v7
	v_add_f16_e32 v27, v27, v7
	v_add_f16_sdwa v8, v8, v7 dst_sel:DWORD dst_unused:UNUSED_PAD src0_sel:DWORD src1_sel:WORD_1
	v_add_f16_e32 v7, v20, v7
	v_add_f16_e32 v8, v8, v9
	;; [unrolled: 1-line block ×17, first 2 shown]
	v_fma_f16 v29, v36, s1, v45
	v_add_f16_sdwa v8, v19, v8 dst_sel:WORD_1 dst_unused:UNUSED_PAD src0_sel:DWORD src1_sel:DWORD
	v_add_f16_e32 v3, v23, v3
	v_add_f16_e32 v93, v93, v94
	v_fma_f16 v94, v50, s1, -v51
	v_fma_f16 v51, v36, s5, v64
	v_add_f16_e32 v27, v27, v29
	v_fma_f16 v29, v47, s4, v49
	v_or_b32_e32 v4, v8, v3
	v_mov_b32_e32 v3, 0
	v_mov_b32_e32 v5, s3
	v_add_co_u32_e32 v6, vcc, s2, v0
	v_add_f16_e32 v48, v48, v51
	v_fma_f16 v51, v47, s6, v65
	v_add_f16_e32 v27, v27, v29
	v_fma_f16 v29, v50, s5, v52
	v_addc_co_u32_e32 v5, vcc, v5, v1, vcc
	v_lshlrev_b64 v[0:1], 2, v[2:3]
	v_add_f16_e32 v48, v48, v51
	v_fma_f16 v51, v50, s4, v66
	v_add_f16_e32 v27, v27, v29
	v_fma_f16 v29, v53, s6, v55
	;; [unrolled: 2-line block ×3, first 2 shown]
	v_add_f16_e32 v27, v27, v29
	v_add_co_u32_e32 v0, vcc, v6, v0
	v_add_f16_e32 v48, v48, v51
	v_addc_co_u32_e32 v1, vcc, v5, v1, vcc
	v_pack_b32_f16 v2, v27, v25
	global_store_dword v[0:1], v2, off offset:352
	v_pack_b32_f16 v2, v48, v44
	global_store_dword v[0:1], v2, off offset:704
	v_pack_b32_f16 v2, v35, v32
	v_add_f16_e32 v93, v93, v94
	v_fma_f16 v94, v53, s4, -v54
	global_store_dword v[0:1], v2, off offset:1056
	v_pack_b32_f16 v2, v30, v28
	v_add_f16_e32 v93, v93, v94
	global_store_dword v[0:1], v2, off offset:1408
	v_pack_b32_f16 v2, v26, v24
	global_store_dword v[0:1], v2, off offset:1760
	v_pack_b32_f16 v2, v93, v92
	global_store_dword v[0:1], v2, off offset:2112
	v_pack_b32_f16 v2, v87, v81
	global_store_dword v[0:1], v2, off offset:2464
	v_pack_b32_f16 v2, v75, v69
	global_store_dword v[0:1], v2, off offset:2816
	v_pack_b32_f16 v2, v63, v57
	global_store_dword v[0:1], v2, off offset:3168
	v_pack_b32_f16 v2, v46, v43
	global_store_dword v[0:1], v4, off
	global_store_dword v[0:1], v2, off offset:3520
.LBB0_25:
	s_endpgm
	.section	.rodata,"a",@progbits
	.p2align	6, 0x0
	.amdhsa_kernel fft_rtc_back_len968_factors_2_2_2_11_11_wgs_176_tpt_88_half_ip_CI_unitstride_sbrr_dirReg
		.amdhsa_group_segment_fixed_size 0
		.amdhsa_private_segment_fixed_size 0
		.amdhsa_kernarg_size 88
		.amdhsa_user_sgpr_count 6
		.amdhsa_user_sgpr_private_segment_buffer 1
		.amdhsa_user_sgpr_dispatch_ptr 0
		.amdhsa_user_sgpr_queue_ptr 0
		.amdhsa_user_sgpr_kernarg_segment_ptr 1
		.amdhsa_user_sgpr_dispatch_id 0
		.amdhsa_user_sgpr_flat_scratch_init 0
		.amdhsa_user_sgpr_private_segment_size 0
		.amdhsa_uses_dynamic_stack 0
		.amdhsa_system_sgpr_private_segment_wavefront_offset 0
		.amdhsa_system_sgpr_workgroup_id_x 1
		.amdhsa_system_sgpr_workgroup_id_y 0
		.amdhsa_system_sgpr_workgroup_id_z 0
		.amdhsa_system_sgpr_workgroup_info 0
		.amdhsa_system_vgpr_workitem_id 0
		.amdhsa_next_free_vgpr 95
		.amdhsa_next_free_sgpr 22
		.amdhsa_reserve_vcc 1
		.amdhsa_reserve_flat_scratch 0
		.amdhsa_float_round_mode_32 0
		.amdhsa_float_round_mode_16_64 0
		.amdhsa_float_denorm_mode_32 3
		.amdhsa_float_denorm_mode_16_64 3
		.amdhsa_dx10_clamp 1
		.amdhsa_ieee_mode 1
		.amdhsa_fp16_overflow 0
		.amdhsa_exception_fp_ieee_invalid_op 0
		.amdhsa_exception_fp_denorm_src 0
		.amdhsa_exception_fp_ieee_div_zero 0
		.amdhsa_exception_fp_ieee_overflow 0
		.amdhsa_exception_fp_ieee_underflow 0
		.amdhsa_exception_fp_ieee_inexact 0
		.amdhsa_exception_int_div_zero 0
	.end_amdhsa_kernel
	.text
.Lfunc_end0:
	.size	fft_rtc_back_len968_factors_2_2_2_11_11_wgs_176_tpt_88_half_ip_CI_unitstride_sbrr_dirReg, .Lfunc_end0-fft_rtc_back_len968_factors_2_2_2_11_11_wgs_176_tpt_88_half_ip_CI_unitstride_sbrr_dirReg
                                        ; -- End function
	.section	.AMDGPU.csdata,"",@progbits
; Kernel info:
; codeLenInByte = 8180
; NumSgprs: 26
; NumVgprs: 95
; ScratchSize: 0
; MemoryBound: 0
; FloatMode: 240
; IeeeMode: 1
; LDSByteSize: 0 bytes/workgroup (compile time only)
; SGPRBlocks: 3
; VGPRBlocks: 23
; NumSGPRsForWavesPerEU: 26
; NumVGPRsForWavesPerEU: 95
; Occupancy: 2
; WaveLimiterHint : 1
; COMPUTE_PGM_RSRC2:SCRATCH_EN: 0
; COMPUTE_PGM_RSRC2:USER_SGPR: 6
; COMPUTE_PGM_RSRC2:TRAP_HANDLER: 0
; COMPUTE_PGM_RSRC2:TGID_X_EN: 1
; COMPUTE_PGM_RSRC2:TGID_Y_EN: 0
; COMPUTE_PGM_RSRC2:TGID_Z_EN: 0
; COMPUTE_PGM_RSRC2:TIDIG_COMP_CNT: 0
	.type	__hip_cuid_a90eaa22edb490b4,@object ; @__hip_cuid_a90eaa22edb490b4
	.section	.bss,"aw",@nobits
	.globl	__hip_cuid_a90eaa22edb490b4
__hip_cuid_a90eaa22edb490b4:
	.byte	0                               ; 0x0
	.size	__hip_cuid_a90eaa22edb490b4, 1

	.ident	"AMD clang version 19.0.0git (https://github.com/RadeonOpenCompute/llvm-project roc-6.4.0 25133 c7fe45cf4b819c5991fe208aaa96edf142730f1d)"
	.section	".note.GNU-stack","",@progbits
	.addrsig
	.addrsig_sym __hip_cuid_a90eaa22edb490b4
	.amdgpu_metadata
---
amdhsa.kernels:
  - .args:
      - .actual_access:  read_only
        .address_space:  global
        .offset:         0
        .size:           8
        .value_kind:     global_buffer
      - .offset:         8
        .size:           8
        .value_kind:     by_value
      - .actual_access:  read_only
        .address_space:  global
        .offset:         16
        .size:           8
        .value_kind:     global_buffer
      - .actual_access:  read_only
        .address_space:  global
        .offset:         24
        .size:           8
        .value_kind:     global_buffer
      - .offset:         32
        .size:           8
        .value_kind:     by_value
      - .actual_access:  read_only
        .address_space:  global
        .offset:         40
        .size:           8
        .value_kind:     global_buffer
      - .actual_access:  read_only
        .address_space:  global
        .offset:         48
        .size:           8
        .value_kind:     global_buffer
      - .offset:         56
        .size:           4
        .value_kind:     by_value
      - .actual_access:  read_only
        .address_space:  global
        .offset:         64
        .size:           8
        .value_kind:     global_buffer
      - .actual_access:  read_only
        .address_space:  global
        .offset:         72
        .size:           8
        .value_kind:     global_buffer
      - .address_space:  global
        .offset:         80
        .size:           8
        .value_kind:     global_buffer
    .group_segment_fixed_size: 0
    .kernarg_segment_align: 8
    .kernarg_segment_size: 88
    .language:       OpenCL C
    .language_version:
      - 2
      - 0
    .max_flat_workgroup_size: 176
    .name:           fft_rtc_back_len968_factors_2_2_2_11_11_wgs_176_tpt_88_half_ip_CI_unitstride_sbrr_dirReg
    .private_segment_fixed_size: 0
    .sgpr_count:     26
    .sgpr_spill_count: 0
    .symbol:         fft_rtc_back_len968_factors_2_2_2_11_11_wgs_176_tpt_88_half_ip_CI_unitstride_sbrr_dirReg.kd
    .uniform_work_group_size: 1
    .uses_dynamic_stack: false
    .vgpr_count:     95
    .vgpr_spill_count: 0
    .wavefront_size: 64
amdhsa.target:   amdgcn-amd-amdhsa--gfx906
amdhsa.version:
  - 1
  - 2
...

	.end_amdgpu_metadata
